;; amdgpu-corpus repo=ROCm/rocFFT kind=compiled arch=gfx1030 opt=O3
	.text
	.amdgcn_target "amdgcn-amd-amdhsa--gfx1030"
	.amdhsa_code_object_version 6
	.protected	fft_rtc_back_len432_factors_3_16_3_3_wgs_54_tpt_27_halfLds_dp_ip_CI_sbrr_dirReg ; -- Begin function fft_rtc_back_len432_factors_3_16_3_3_wgs_54_tpt_27_halfLds_dp_ip_CI_sbrr_dirReg
	.globl	fft_rtc_back_len432_factors_3_16_3_3_wgs_54_tpt_27_halfLds_dp_ip_CI_sbrr_dirReg
	.p2align	8
	.type	fft_rtc_back_len432_factors_3_16_3_3_wgs_54_tpt_27_halfLds_dp_ip_CI_sbrr_dirReg,@function
fft_rtc_back_len432_factors_3_16_3_3_wgs_54_tpt_27_halfLds_dp_ip_CI_sbrr_dirReg: ; @fft_rtc_back_len432_factors_3_16_3_3_wgs_54_tpt_27_halfLds_dp_ip_CI_sbrr_dirReg
; %bb.0:
	s_clause 0x2
	s_load_dwordx2 s[14:15], s[4:5], 0x18
	s_load_dwordx4 s[8:11], s[4:5], 0x0
	s_load_dwordx2 s[12:13], s[4:5], 0x50
	v_mul_u32_u24_e32 v1, 0x97c, v0
	v_mov_b32_e32 v3, 0
	v_lshrrev_b32_e32 v24, 16, v1
	v_mov_b32_e32 v1, 0
	v_mov_b32_e32 v6, v3
	v_mov_b32_e32 v2, 0
	v_lshl_add_u32 v5, s6, 1, v24
	s_waitcnt lgkmcnt(0)
	s_load_dwordx2 s[2:3], s[14:15], 0x0
	v_cmp_lt_u64_e64 s0, s[10:11], 2
	s_and_b32 vcc_lo, exec_lo, s0
	s_cbranch_vccnz .LBB0_8
; %bb.1:
	s_load_dwordx2 s[0:1], s[4:5], 0x10
	v_mov_b32_e32 v1, 0
	s_add_u32 s6, s14, 8
	v_mov_b32_e32 v2, 0
	s_addc_u32 s7, s15, 0
	s_mov_b64 s[18:19], 1
	s_waitcnt lgkmcnt(0)
	s_add_u32 s16, s0, 8
	s_addc_u32 s17, s1, 0
.LBB0_2:                                ; =>This Inner Loop Header: Depth=1
	s_load_dwordx2 s[20:21], s[16:17], 0x0
                                        ; implicit-def: $vgpr7_vgpr8
	s_mov_b32 s0, exec_lo
	s_waitcnt lgkmcnt(0)
	v_or_b32_e32 v4, s21, v6
	v_cmpx_ne_u64_e32 0, v[3:4]
	s_xor_b32 s1, exec_lo, s0
	s_cbranch_execz .LBB0_4
; %bb.3:                                ;   in Loop: Header=BB0_2 Depth=1
	v_cvt_f32_u32_e32 v4, s20
	v_cvt_f32_u32_e32 v7, s21
	s_sub_u32 s0, 0, s20
	s_subb_u32 s22, 0, s21
	v_fmac_f32_e32 v4, 0x4f800000, v7
	v_rcp_f32_e32 v4, v4
	v_mul_f32_e32 v4, 0x5f7ffffc, v4
	v_mul_f32_e32 v7, 0x2f800000, v4
	v_trunc_f32_e32 v7, v7
	v_fmac_f32_e32 v4, 0xcf800000, v7
	v_cvt_u32_f32_e32 v7, v7
	v_cvt_u32_f32_e32 v4, v4
	v_mul_lo_u32 v8, s0, v7
	v_mul_hi_u32 v9, s0, v4
	v_mul_lo_u32 v10, s22, v4
	v_add_nc_u32_e32 v8, v9, v8
	v_mul_lo_u32 v9, s0, v4
	v_add_nc_u32_e32 v8, v8, v10
	v_mul_hi_u32 v10, v4, v9
	v_mul_lo_u32 v11, v4, v8
	v_mul_hi_u32 v12, v4, v8
	v_mul_hi_u32 v13, v7, v9
	v_mul_lo_u32 v9, v7, v9
	v_mul_hi_u32 v14, v7, v8
	v_mul_lo_u32 v8, v7, v8
	v_add_co_u32 v10, vcc_lo, v10, v11
	v_add_co_ci_u32_e32 v11, vcc_lo, 0, v12, vcc_lo
	v_add_co_u32 v9, vcc_lo, v10, v9
	v_add_co_ci_u32_e32 v9, vcc_lo, v11, v13, vcc_lo
	v_add_co_ci_u32_e32 v10, vcc_lo, 0, v14, vcc_lo
	v_add_co_u32 v8, vcc_lo, v9, v8
	v_add_co_ci_u32_e32 v9, vcc_lo, 0, v10, vcc_lo
	v_add_co_u32 v4, vcc_lo, v4, v8
	v_add_co_ci_u32_e32 v7, vcc_lo, v7, v9, vcc_lo
	v_mul_hi_u32 v8, s0, v4
	v_mul_lo_u32 v10, s22, v4
	v_mul_lo_u32 v9, s0, v7
	v_add_nc_u32_e32 v8, v8, v9
	v_mul_lo_u32 v9, s0, v4
	v_add_nc_u32_e32 v8, v8, v10
	v_mul_hi_u32 v10, v4, v9
	v_mul_lo_u32 v11, v4, v8
	v_mul_hi_u32 v12, v4, v8
	v_mul_hi_u32 v13, v7, v9
	v_mul_lo_u32 v9, v7, v9
	v_mul_hi_u32 v14, v7, v8
	v_mul_lo_u32 v8, v7, v8
	v_add_co_u32 v10, vcc_lo, v10, v11
	v_add_co_ci_u32_e32 v11, vcc_lo, 0, v12, vcc_lo
	v_add_co_u32 v9, vcc_lo, v10, v9
	v_add_co_ci_u32_e32 v9, vcc_lo, v11, v13, vcc_lo
	v_add_co_ci_u32_e32 v10, vcc_lo, 0, v14, vcc_lo
	v_add_co_u32 v8, vcc_lo, v9, v8
	v_add_co_ci_u32_e32 v9, vcc_lo, 0, v10, vcc_lo
	v_add_co_u32 v4, vcc_lo, v4, v8
	v_add_co_ci_u32_e32 v11, vcc_lo, v7, v9, vcc_lo
	v_mul_hi_u32 v13, v5, v4
	v_mad_u64_u32 v[9:10], null, v6, v4, 0
	v_mad_u64_u32 v[7:8], null, v5, v11, 0
	;; [unrolled: 1-line block ×3, first 2 shown]
	v_add_co_u32 v4, vcc_lo, v13, v7
	v_add_co_ci_u32_e32 v7, vcc_lo, 0, v8, vcc_lo
	v_add_co_u32 v4, vcc_lo, v4, v9
	v_add_co_ci_u32_e32 v4, vcc_lo, v7, v10, vcc_lo
	v_add_co_ci_u32_e32 v7, vcc_lo, 0, v12, vcc_lo
	v_add_co_u32 v4, vcc_lo, v4, v11
	v_add_co_ci_u32_e32 v9, vcc_lo, 0, v7, vcc_lo
	v_mul_lo_u32 v10, s21, v4
	v_mad_u64_u32 v[7:8], null, s20, v4, 0
	v_mul_lo_u32 v11, s20, v9
	v_sub_co_u32 v7, vcc_lo, v5, v7
	v_add3_u32 v8, v8, v11, v10
	v_sub_nc_u32_e32 v10, v6, v8
	v_subrev_co_ci_u32_e64 v10, s0, s21, v10, vcc_lo
	v_add_co_u32 v11, s0, v4, 2
	v_add_co_ci_u32_e64 v12, s0, 0, v9, s0
	v_sub_co_u32 v13, s0, v7, s20
	v_sub_co_ci_u32_e32 v8, vcc_lo, v6, v8, vcc_lo
	v_subrev_co_ci_u32_e64 v10, s0, 0, v10, s0
	v_cmp_le_u32_e32 vcc_lo, s20, v13
	v_cmp_eq_u32_e64 s0, s21, v8
	v_cndmask_b32_e64 v13, 0, -1, vcc_lo
	v_cmp_le_u32_e32 vcc_lo, s21, v10
	v_cndmask_b32_e64 v14, 0, -1, vcc_lo
	v_cmp_le_u32_e32 vcc_lo, s20, v7
	;; [unrolled: 2-line block ×3, first 2 shown]
	v_cndmask_b32_e64 v15, 0, -1, vcc_lo
	v_cmp_eq_u32_e32 vcc_lo, s21, v10
	v_cndmask_b32_e64 v7, v15, v7, s0
	v_cndmask_b32_e32 v10, v14, v13, vcc_lo
	v_add_co_u32 v13, vcc_lo, v4, 1
	v_add_co_ci_u32_e32 v14, vcc_lo, 0, v9, vcc_lo
	v_cmp_ne_u32_e32 vcc_lo, 0, v10
	v_cndmask_b32_e32 v8, v14, v12, vcc_lo
	v_cndmask_b32_e32 v10, v13, v11, vcc_lo
	v_cmp_ne_u32_e32 vcc_lo, 0, v7
	v_cndmask_b32_e32 v8, v9, v8, vcc_lo
	v_cndmask_b32_e32 v7, v4, v10, vcc_lo
.LBB0_4:                                ;   in Loop: Header=BB0_2 Depth=1
	s_andn2_saveexec_b32 s0, s1
	s_cbranch_execz .LBB0_6
; %bb.5:                                ;   in Loop: Header=BB0_2 Depth=1
	v_cvt_f32_u32_e32 v4, s20
	s_sub_i32 s1, 0, s20
	v_rcp_iflag_f32_e32 v4, v4
	v_mul_f32_e32 v4, 0x4f7ffffe, v4
	v_cvt_u32_f32_e32 v4, v4
	v_mul_lo_u32 v7, s1, v4
	v_mul_hi_u32 v7, v4, v7
	v_add_nc_u32_e32 v4, v4, v7
	v_mul_hi_u32 v4, v5, v4
	v_mul_lo_u32 v7, v4, s20
	v_add_nc_u32_e32 v8, 1, v4
	v_sub_nc_u32_e32 v7, v5, v7
	v_subrev_nc_u32_e32 v9, s20, v7
	v_cmp_le_u32_e32 vcc_lo, s20, v7
	v_cndmask_b32_e32 v7, v7, v9, vcc_lo
	v_cndmask_b32_e32 v4, v4, v8, vcc_lo
	v_cmp_le_u32_e32 vcc_lo, s20, v7
	v_add_nc_u32_e32 v8, 1, v4
	v_cndmask_b32_e32 v7, v4, v8, vcc_lo
	v_mov_b32_e32 v8, v3
.LBB0_6:                                ;   in Loop: Header=BB0_2 Depth=1
	s_or_b32 exec_lo, exec_lo, s0
	s_load_dwordx2 s[0:1], s[6:7], 0x0
	v_mul_lo_u32 v4, v8, s20
	v_mul_lo_u32 v11, v7, s21
	v_mad_u64_u32 v[9:10], null, v7, s20, 0
	s_add_u32 s18, s18, 1
	s_addc_u32 s19, s19, 0
	s_add_u32 s6, s6, 8
	s_addc_u32 s7, s7, 0
	s_add_u32 s16, s16, 8
	s_addc_u32 s17, s17, 0
	v_add3_u32 v4, v10, v11, v4
	v_sub_co_u32 v5, vcc_lo, v5, v9
	v_sub_co_ci_u32_e32 v4, vcc_lo, v6, v4, vcc_lo
	s_waitcnt lgkmcnt(0)
	v_mul_lo_u32 v6, s1, v5
	v_mul_lo_u32 v4, s0, v4
	v_mad_u64_u32 v[1:2], null, s0, v5, v[1:2]
	v_cmp_ge_u64_e64 s0, s[18:19], s[10:11]
	s_and_b32 vcc_lo, exec_lo, s0
	v_add3_u32 v2, v6, v2, v4
	s_cbranch_vccnz .LBB0_9
; %bb.7:                                ;   in Loop: Header=BB0_2 Depth=1
	v_mov_b32_e32 v5, v7
	v_mov_b32_e32 v6, v8
	s_branch .LBB0_2
.LBB0_8:
	v_mov_b32_e32 v8, v6
	v_mov_b32_e32 v7, v5
.LBB0_9:
	s_lshl_b64 s[0:1], s[10:11], 3
	v_mul_hi_u32 v3, 0x97b425f, v0
	s_add_u32 s0, s14, s0
	s_addc_u32 s1, s15, s1
	s_load_dwordx2 s[4:5], s[4:5], 0x20
	s_load_dwordx2 s[0:1], s[0:1], 0x0
                                        ; implicit-def: $vgpr120
                                        ; implicit-def: $vgpr121
                                        ; implicit-def: $vgpr122
                                        ; implicit-def: $vgpr123
	v_mul_u32_u24_e32 v3, 27, v3
	v_sub_nc_u32_e32 v106, v0, v3
	v_add_nc_u32_e32 v110, 27, v106
	v_add_nc_u32_e32 v108, 54, v106
	;; [unrolled: 1-line block ×4, first 2 shown]
	s_waitcnt lgkmcnt(0)
	v_cmp_gt_u64_e32 vcc_lo, s[4:5], v[7:8]
	v_mul_lo_u32 v3, s0, v8
	v_mul_lo_u32 v4, s1, v7
	v_mad_u64_u32 v[0:1], null, s0, v7, v[1:2]
	v_cmp_le_u64_e64 s0, s[4:5], v[7:8]
	v_add3_u32 v1, v4, v1, v3
	s_and_saveexec_b32 s1, s0
	s_xor_b32 s0, exec_lo, s1
; %bb.10:
	v_add_nc_u32_e32 v120, 27, v106
	v_add_nc_u32_e32 v121, 54, v106
	;; [unrolled: 1-line block ×4, first 2 shown]
; %bb.11:
	s_or_saveexec_b32 s1, s0
	v_lshlrev_b64 v[78:79], 4, v[0:1]
	v_add_nc_u32_e32 v117, 0x90, v106
	v_or_b32_e32 v118, 0x120, v106
	v_add_nc_u32_e32 v115, 0xab, v106
	v_add_nc_u32_e32 v116, 0x13b, v106
	;; [unrolled: 1-line block ×6, first 2 shown]
                                        ; implicit-def: $vgpr14_vgpr15
                                        ; implicit-def: $vgpr2_vgpr3
                                        ; implicit-def: $vgpr18_vgpr19
                                        ; implicit-def: $vgpr52_vgpr53
                                        ; implicit-def: $vgpr10_vgpr11
                                        ; implicit-def: $vgpr56_vgpr57
                                        ; implicit-def: $vgpr22_vgpr23
                                        ; implicit-def: $vgpr60_vgpr61
                                        ; implicit-def: $vgpr44_vgpr45
                                        ; implicit-def: $vgpr64_vgpr65
                                        ; implicit-def: $vgpr68_vgpr69
                                        ; implicit-def: $vgpr48_vgpr49
                                        ; implicit-def: $vgpr36_vgpr37
                                        ; implicit-def: $vgpr32_vgpr33
                                        ; implicit-def: $vgpr28_vgpr29
                                        ; implicit-def: $vgpr76_vgpr77
                                        ; implicit-def: $vgpr72_vgpr73
                                        ; implicit-def: $vgpr40_vgpr41
	s_xor_b32 exec_lo, exec_lo, s1
	s_cbranch_execz .LBB0_15
; %bb.12:
	v_mad_u64_u32 v[0:1], null, s2, v106, 0
	v_mad_u64_u32 v[2:3], null, s2, v117, 0
	;; [unrolled: 1-line block ×6, first 2 shown]
	v_mov_b32_e32 v1, v7
	v_mad_u64_u32 v[16:17], null, s2, v108, 0
	v_mad_u64_u32 v[18:19], null, s2, v113, 0
	;; [unrolled: 1-line block ×6, first 2 shown]
	v_mov_b32_e32 v1, v4
	v_add_co_u32 v4, s0, s12, v78
	v_mov_b32_e32 v3, v10
	v_mad_u64_u32 v[9:10], null, s3, v110, v[9:10]
	v_mov_b32_e32 v10, v13
	v_mov_b32_e32 v7, v11
	v_lshlrev_b64 v[0:1], 4, v[0:1]
	v_add_co_ci_u32_e64 v5, s0, s13, v79, s0
	v_mad_u64_u32 v[10:11], null, s3, v115, v[10:11]
	v_mov_b32_e32 v11, v15
	v_lshlrev_b64 v[2:3], 4, v[2:3]
	v_add_co_u32 v0, s0, v4, v0
	v_lshlrev_b64 v[6:7], 4, v[6:7]
	v_add_co_ci_u32_e64 v1, s0, v5, v1, s0
	v_mov_b32_e32 v13, v10
	v_mad_u64_u32 v[10:11], null, s3, v116, v[11:12]
	v_mov_b32_e32 v11, v17
	v_add_co_u32 v2, s0, v4, v2
	v_lshlrev_b64 v[12:13], 4, v[12:13]
	v_lshlrev_b64 v[8:9], 4, v[8:9]
	v_add_co_ci_u32_e64 v3, s0, v5, v3, s0
	v_mov_b32_e32 v15, v10
	v_mov_b32_e32 v10, v19
	v_add_co_u32 v6, s0, v4, v6
	v_mad_u64_u32 v[19:20], null, s3, v108, v[11:12]
	v_mad_u64_u32 v[20:21], null, s2, v114, 0
	v_add_co_ci_u32_e64 v7, s0, v5, v7, s0
	v_add_co_u32 v8, s0, v4, v8
	v_mad_u64_u32 v[10:11], null, s3, v113, v[10:11]
	v_add_co_ci_u32_e64 v9, s0, v5, v9, s0
	v_add_co_u32 v22, s0, v4, v12
	v_lshlrev_b64 v[11:12], 4, v[14:15]
	v_mad_u64_u32 v[14:15], null, s2, v107, 0
	v_add_co_ci_u32_e64 v23, s0, v5, v13, s0
	v_mov_b32_e32 v13, v21
	v_mov_b32_e32 v17, v19
	;; [unrolled: 1-line block ×3, first 2 shown]
	v_add_co_u32 v10, s0, v4, v11
	v_mad_u64_u32 v[25:26], null, s3, v114, v[13:14]
	v_add_co_ci_u32_e64 v11, s0, v5, v12, s0
	v_lshlrev_b64 v[12:13], 4, v[16:17]
	v_lshlrev_b64 v[16:17], 4, v[18:19]
	v_mad_u64_u32 v[18:19], null, s2, v111, 0
	v_mov_b32_e32 v21, v25
	v_mad_u64_u32 v[32:33], null, s2, v109, 0
	v_mad_u64_u32 v[25:26], null, s3, v107, v[15:16]
	v_add_co_u32 v26, s0, v4, v12
	v_add_co_ci_u32_e64 v27, s0, v5, v13, s0
	v_lshlrev_b64 v[12:13], 4, v[20:21]
	v_add_co_u32 v20, s0, v4, v16
	v_add_co_ci_u32_e64 v21, s0, v5, v17, s0
	v_mov_b32_e32 v15, v25
	v_mad_u64_u32 v[16:17], null, s3, v111, v[19:20]
	v_add_co_u32 v28, s0, v4, v12
	v_add_co_ci_u32_e64 v29, s0, v5, v13, s0
	v_lshlrev_b64 v[12:13], 4, v[14:15]
	v_add_nc_u32_e32 v48, 0x18c, v106
	v_mov_b32_e32 v19, v16
	v_mov_b32_e32 v15, v33
	s_mov_b32 s4, exec_lo
	v_add_co_u32 v34, s0, v4, v12
	v_add_co_ci_u32_e64 v35, s0, v5, v13, s0
	v_lshlrev_b64 v[13:14], 4, v[18:19]
	v_mov_b32_e32 v12, v31
	v_add_nc_u32_e32 v19, 0xfc, v106
	v_mad_u64_u32 v[44:45], null, s2, v48, 0
	v_mad_u64_u32 v[16:17], null, s3, v112, v[12:13]
	;; [unrolled: 1-line block ×3, first 2 shown]
	v_add_co_u32 v42, s0, v4, v13
	v_mov_b32_e32 v25, v45
	v_add_co_ci_u32_e64 v43, s0, v5, v14, s0
	v_mad_u64_u32 v[17:18], null, s3, v109, v[15:16]
	v_mov_b32_e32 v18, v37
	v_mov_b32_e32 v31, v16
	s_clause 0x1
	global_load_dwordx4 v[38:41], v[0:1], off
	global_load_dwordx4 v[12:15], v[2:3], off
	v_mad_u64_u32 v[46:47], null, s3, v19, v[18:19]
	v_mov_b32_e32 v33, v17
	s_clause 0x1
	global_load_dwordx4 v[0:3], v[6:7], off
	global_load_dwordx4 v[16:19], v[8:9], off
	v_mad_u64_u32 v[8:9], null, s3, v48, v[25:26]
	v_lshlrev_b64 v[6:7], 4, v[30:31]
	v_lshlrev_b64 v[30:31], 4, v[32:33]
	v_mov_b32_e32 v37, v46
	v_mov_b32_e32 v45, v8
	v_add_co_u32 v6, s0, v4, v6
	v_lshlrev_b64 v[32:33], 4, v[36:37]
	v_add_co_ci_u32_e64 v7, s0, v5, v7, s0
	v_add_co_u32 v30, s0, v4, v30
	v_lshlrev_b64 v[8:9], 4, v[44:45]
	v_add_co_ci_u32_e64 v31, s0, v5, v31, s0
	v_add_co_u32 v32, s0, v4, v32
	v_add_co_ci_u32_e64 v33, s0, v5, v33, s0
	v_add_co_u32 v36, s0, v4, v8
	v_add_co_ci_u32_e64 v37, s0, v5, v9, s0
	s_clause 0xa
	global_load_dwordx4 v[50:53], v[22:23], off
	global_load_dwordx4 v[8:11], v[10:11], off
	;; [unrolled: 1-line block ×11, first 2 shown]
                                        ; implicit-def: $vgpr26_vgpr27
                                        ; implicit-def: $vgpr30_vgpr31
                                        ; implicit-def: $vgpr34_vgpr35
	v_cmpx_gt_u32_e32 9, v106
	s_cbranch_execz .LBB0_14
; %bb.13:
	v_add_nc_u32_e32 v29, 0x87, v106
	v_add_nc_u32_e32 v31, 0x117, v106
	;; [unrolled: 1-line block ×3, first 2 shown]
	v_mad_u64_u32 v[6:7], null, s2, v29, 0
	v_mad_u64_u32 v[25:26], null, s2, v31, 0
	;; [unrolled: 1-line block ×3, first 2 shown]
	s_waitcnt vmcnt(9)
	v_mad_u64_u32 v[29:30], null, s3, v29, v[7:8]
	v_mad_u64_u32 v[30:31], null, s3, v31, v[26:27]
	;; [unrolled: 1-line block ×3, first 2 shown]
	v_mov_b32_e32 v7, v29
	v_mov_b32_e32 v26, v30
	v_lshlrev_b64 v[6:7], 4, v[6:7]
	v_mov_b32_e32 v28, v31
	v_lshlrev_b64 v[25:26], 4, v[25:26]
	v_add_co_u32 v6, s0, v4, v6
	v_lshlrev_b64 v[27:28], 4, v[27:28]
	v_add_co_ci_u32_e64 v7, s0, v5, v7, s0
	v_add_co_u32 v30, s0, v4, v25
	v_add_co_ci_u32_e64 v31, s0, v5, v26, s0
	v_add_co_u32 v4, s0, v4, v27
	v_add_co_ci_u32_e64 v5, s0, v5, v28, s0
	s_clause 0x2
	global_load_dwordx4 v[26:29], v[6:7], off
	global_load_dwordx4 v[30:33], v[30:31], off
	;; [unrolled: 1-line block ×3, first 2 shown]
.LBB0_14:
	s_or_b32 exec_lo, exec_lo, s4
	v_mov_b32_e32 v123, v109
	v_mov_b32_e32 v122, v107
	;; [unrolled: 1-line block ×4, first 2 shown]
.LBB0_15:
	s_or_b32 exec_lo, exec_lo, s1
	s_waitcnt vmcnt(12)
	v_add_f64 v[4:5], v[12:13], v[0:1]
	s_waitcnt vmcnt(9)
	v_add_f64 v[6:7], v[50:51], v[8:9]
	;; [unrolled: 2-line block ×5, first 2 shown]
	v_add_f64 v[86:87], v[34:35], v[30:31]
	v_add_f64 v[88:89], v[12:13], v[38:39]
	v_add_f64 v[90:91], v[14:15], -v[2:3]
	v_add_f64 v[92:93], v[16:17], v[50:51]
	v_add_f64 v[94:95], v[52:53], -v[10:11]
	v_add_f64 v[96:97], v[54:55], v[70:71]
	v_add_f64 v[98:99], v[58:59], v[74:75]
	;; [unrolled: 1-line block ×3, first 2 shown]
	v_and_b32_e32 v25, 1, v24
	s_mov_b32 s4, 0xe8584caa
	s_mov_b32 s5, 0xbfebb67a
	;; [unrolled: 1-line block ×4, first 2 shown]
	v_cmp_eq_u32_e64 s0, 1, v25
	v_mad_u32_u24 v24, v106, 24, 0
	v_fma_f64 v[4:5], v[4:5], -0.5, v[38:39]
	v_fma_f64 v[6:7], v[6:7], -0.5, v[16:17]
	;; [unrolled: 1-line block ×3, first 2 shown]
	v_add_f64 v[80:81], v[68:69], -v[48:49]
	v_fma_f64 v[74:75], v[82:83], -0.5, v[74:75]
	v_add_f64 v[82:83], v[32:33], -v[36:37]
	v_fma_f64 v[62:63], v[84:85], -0.5, v[62:63]
	v_fma_f64 v[84:85], v[86:87], -0.5, v[26:27]
	v_add_f64 v[38:39], v[56:57], -v[22:23]
	v_add_f64 v[16:17], v[60:61], -v[44:45]
	v_add_f64 v[86:87], v[0:1], v[88:89]
	v_add_f64 v[88:89], v[92:93], v[8:9]
	;; [unrolled: 1-line block ×5, first 2 shown]
	v_cndmask_b32_e64 v25, 0, 0x1b0, s0
	v_cmp_gt_u32_e64 s0, 9, v106
	v_lshlrev_b32_e32 v124, 3, v25
	v_fma_f64 v[100:101], v[90:91], s[4:5], v[4:5]
	v_fma_f64 v[102:103], v[94:95], s[4:5], v[6:7]
	;; [unrolled: 1-line block ×4, first 2 shown]
	v_mad_i32_i24 v5, v120, 24, 0
	v_mad_i32_i24 v4, v123, 24, 0
	v_fma_f64 v[129:130], v[80:81], s[4:5], v[62:63]
	v_fma_f64 v[131:132], v[80:81], s[6:7], v[62:63]
	;; [unrolled: 1-line block ×8, first 2 shown]
	v_mad_i32_i24 v16, v121, 24, 0
	v_mad_i32_i24 v17, v122, 24, 0
	v_add_nc_u32_e32 v80, v24, v124
	v_add_nc_u32_e32 v75, v5, v124
	;; [unrolled: 1-line block ×5, first 2 shown]
	ds_write2_b64 v80, v[86:87], v[100:101] offset1:1
	ds_write_b64 v80, v[90:91] offset:16
	ds_write2_b64 v75, v[88:89], v[102:103] offset1:1
	ds_write_b64 v75, v[94:95] offset:16
	;; [unrolled: 2-line block ×5, first 2 shown]
	s_and_saveexec_b32 s1, s0
	s_cbranch_execz .LBB0_17
; %bb.16:
	v_add_f64 v[26:27], v[30:31], v[26:27]
	v_lshl_add_u32 v24, v25, 3, v24
	v_add_nc_u32_e32 v25, 0xca8, v24
	v_add_f64 v[26:27], v[34:35], v[26:27]
	ds_write2_b64 v25, v[26:27], v[6:7] offset1:1
	ds_write_b64 v24, v[62:63] offset:3256
.LBB0_17:
	s_or_b32 exec_lo, exec_lo, s1
	v_add_f64 v[26:27], v[52:53], v[10:11]
	v_add_f64 v[24:25], v[14:15], v[2:3]
	;; [unrolled: 1-line block ×6, first 2 shown]
	v_add_f64 v[0:1], v[12:13], -v[0:1]
	v_add_f64 v[12:13], v[18:19], v[52:53]
	v_add_f64 v[8:9], v[50:51], -v[8:9]
	v_add_f64 v[52:53], v[56:57], v[72:73]
	v_add_f64 v[56:57], v[60:61], v[76:77]
	;; [unrolled: 1-line block ×4, first 2 shown]
	v_add_f64 v[20:21], v[54:55], -v[20:21]
	v_add_f64 v[30:31], v[30:31], -v[34:35]
	v_lshlrev_b32_e32 v69, 4, v120
	v_lshlrev_b32_e32 v91, 4, v121
	s_waitcnt lgkmcnt(0)
	s_barrier
	buffer_gl0_inv
	v_add_nc_u32_e32 v119, 0x87, v106
	v_fma_f64 v[18:19], v[26:27], -0.5, v[18:19]
	v_fma_f64 v[24:25], v[24:25], -0.5, v[40:41]
	;; [unrolled: 1-line block ×3, first 2 shown]
	v_add_f64 v[38:39], v[58:59], -v[42:43]
	v_fma_f64 v[40:41], v[81:82], -0.5, v[76:77]
	v_add_f64 v[42:43], v[66:67], -v[46:47]
	v_fma_f64 v[46:47], v[83:84], -0.5, v[64:65]
	v_fma_f64 v[34:35], v[85:86], -0.5, v[28:29]
	v_lshlrev_b32_e32 v64, 3, v106
	v_add_f64 v[54:55], v[12:13], v[10:11]
	v_add_f64 v[52:53], v[22:23], v[52:53]
	;; [unrolled: 1-line block ×4, first 2 shown]
	v_add3_u32 v126, 0, v124, v64
	v_add_f64 v[56:57], v[44:45], v[56:57]
	v_fma_f64 v[72:73], v[8:9], s[6:7], v[18:19]
	v_fma_f64 v[76:77], v[8:9], s[4:5], v[18:19]
	v_add_nc_u32_e32 v9, 0, v64
	v_fma_f64 v[65:66], v[0:1], s[6:7], v[24:25]
	v_fma_f64 v[67:68], v[0:1], s[4:5], v[24:25]
	v_lshlrev_b32_e32 v0, 4, v122
	v_lshlrev_b32_e32 v8, 4, v123
	v_sub_nc_u32_e32 v1, v5, v69
	v_sub_nc_u32_e32 v5, v16, v91
	v_add_nc_u32_e32 v125, v9, v124
	v_sub_nc_u32_e32 v0, v17, v0
	v_sub_nc_u32_e32 v4, v4, v8
	v_add_nc_u32_e32 v127, v1, v124
	v_add_nc_u32_e32 v128, v5, v124
	;; [unrolled: 1-line block ×5, first 2 shown]
	v_fma_f64 v[81:82], v[20:21], s[6:7], v[26:27]
	v_fma_f64 v[83:84], v[20:21], s[4:5], v[26:27]
	;; [unrolled: 1-line block ×6, first 2 shown]
	ds_read_b64 v[0:1], v126
	ds_read_b64 v[38:39], v127
	;; [unrolled: 1-line block ×4, first 2 shown]
	v_add_nc_u32_e32 v130, v4, v124
	ds_read2_b64 v[16:19], v125 offset0:135 offset1:162
	ds_read2_b64 v[8:11], v125 offset0:189 offset1:216
	;; [unrolled: 1-line block ×5, first 2 shown]
	ds_read_b64 v[44:45], v130
	ds_read_b64 v[4:5], v125 offset:3240
	v_fma_f64 v[2:3], v[30:31], s[6:7], v[34:35]
	v_fma_f64 v[48:49], v[30:31], s[4:5], v[34:35]
	s_waitcnt lgkmcnt(0)
	s_barrier
	buffer_gl0_inv
	ds_write2_b64 v80, v[50:51], v[65:66] offset1:1
	ds_write_b64 v80, v[67:68] offset:16
	ds_write2_b64 v75, v[54:55], v[72:73] offset1:1
	ds_write_b64 v75, v[76:77] offset:16
	;; [unrolled: 2-line block ×5, first 2 shown]
	s_and_saveexec_b32 s1, s0
	s_cbranch_execz .LBB0_19
; %bb.18:
	v_add_f64 v[28:29], v[32:33], v[28:29]
	v_mul_u32_u24_e32 v30, 24, v119
	v_add3_u32 v30, 0, v30, v124
	v_add_f64 v[28:29], v[36:37], v[28:29]
	ds_write2_b64 v30, v[28:29], v[2:3] offset1:1
	ds_write_b64 v30, v[48:49] offset:16
.LBB0_19:
	s_or_b32 exec_lo, exec_lo, s1
	v_and_b32_e32 v28, 0xff, v106
	v_mov_b32_e32 v29, 15
	s_waitcnt lgkmcnt(0)
	s_barrier
	buffer_gl0_inv
	v_mul_lo_u16 v28, 0xab, v28
	s_mov_b32 s16, 0x667f3bcd
	s_mov_b32 s17, 0x3fe6a09e
	;; [unrolled: 1-line block ×4, first 2 shown]
	v_lshrrev_b16 v32, 9, v28
	s_mov_b32 s4, 0xcf328d46
	s_mov_b32 s5, 0xbfed906b
	;; [unrolled: 1-line block ×4, first 2 shown]
	v_mul_lo_u16 v28, v32, 3
	s_mov_b32 s10, 0xa6aea964
	s_mov_b32 s11, 0x3fd87de2
	;; [unrolled: 1-line block ×4, first 2 shown]
	v_sub_nc_u16 v33, v106, v28
	v_mov_b32_e32 v61, 48
	v_mul_u32_u24_sdwa v28, v33, v29 dst_sel:DWORD dst_unused:UNUSED_PAD src0_sel:BYTE_0 src1_sel:DWORD
	v_mul_u32_u24_sdwa v32, v32, v61 dst_sel:DWORD dst_unused:UNUSED_PAD src0_sel:WORD_0 src1_sel:DWORD
	v_lshlrev_b32_e32 v34, 4, v28
	v_or_b32_sdwa v32, v32, v33 dst_sel:DWORD dst_unused:UNUSED_PAD src0_sel:DWORD src1_sel:BYTE_0
	s_clause 0xe
	global_load_dwordx4 v[52:55], v34, s[8:9] offset:64
	global_load_dwordx4 v[56:59], v34, s[8:9] offset:80
	global_load_dwordx4 v[65:68], v34, s[8:9] offset:128
	global_load_dwordx4 v[69:72], v34, s[8:9] offset:144
	global_load_dwordx4 v[73:76], v34, s[8:9] offset:192
	global_load_dwordx4 v[80:83], v34, s[8:9] offset:208
	global_load_dwordx4 v[84:87], v34, s[8:9]
	global_load_dwordx4 v[88:91], v34, s[8:9] offset:48
	global_load_dwordx4 v[28:31], v34, s[8:9] offset:112
	;; [unrolled: 1-line block ×8, first 2 shown]
	ds_read2_b64 v[143:146], v125 offset0:135 offset1:162
	ds_read2_b64 v[147:150], v60 offset0:115 offset1:142
	;; [unrolled: 1-line block ×3, first 2 shown]
	ds_read_b64 v[104:105], v127
	ds_read2_b64 v[34:37], v125 offset0:189 offset1:216
	ds_read_b64 v[159:160], v128
	ds_read_b64 v[161:162], v129
	;; [unrolled: 1-line block ×3, first 2 shown]
	ds_read_b64 v[163:164], v125 offset:3240
	ds_read2_b64 v[155:158], v64 offset0:41 offset1:68
	ds_read_b64 v[46:47], v126
	v_lshlrev_b32_e32 v61, 3, v32
	s_waitcnt vmcnt(0) lgkmcnt(0)
	s_barrier
	buffer_gl0_inv
	v_mul_f64 v[165:166], v[143:144], v[54:55]
	v_mul_f64 v[54:55], v[16:17], v[54:55]
	;; [unrolled: 1-line block ×27, first 2 shown]
	v_fma_f64 v[54:55], v[143:144], v[52:53], -v[54:55]
	v_fma_f64 v[58:59], v[145:146], v[56:57], -v[58:59]
	v_fma_f64 v[24:25], v[24:25], v[65:66], v[169:170]
	v_fma_f64 v[26:27], v[26:27], v[69:70], v[171:172]
	v_mul_f64 v[137:138], v[34:35], v[137:138]
	v_fma_f64 v[75:76], v[151:152], v[73:74], -v[75:76]
	v_fma_f64 v[82:83], v[153:154], v[80:81], -v[82:83]
	v_mul_f64 v[141:142], v[163:164], v[141:142]
	v_fma_f64 v[50:51], v[50:51], v[88:89], -v[179:180]
	v_fma_f64 v[143:144], v[10:11], v[28:29], v[181:182]
	v_fma_f64 v[145:146], v[157:158], v[92:93], -v[183:184]
	v_fma_f64 v[42:43], v[42:43], v[96:97], v[185:186]
	v_fma_f64 v[151:152], v[38:39], v[84:85], v[177:178]
	;; [unrolled: 1-line block ×4, first 2 shown]
	v_fma_f64 v[34:35], v[34:35], v[135:136], -v[191:192]
	v_fma_f64 v[38:39], v[163:164], v[139:140], -v[193:194]
	v_fma_f64 v[16:17], v[16:17], v[52:53], v[165:166]
	v_fma_f64 v[18:19], v[18:19], v[56:57], v[167:168]
	v_fma_f64 v[52:53], v[147:148], v[65:66], -v[67:68]
	v_fma_f64 v[44:45], v[44:45], v[88:89], v[90:91]
	v_fma_f64 v[22:23], v[22:23], v[92:93], v[94:95]
	v_fma_f64 v[56:57], v[149:150], v[69:70], -v[71:72]
	v_fma_f64 v[65:66], v[159:160], v[96:97], -v[98:99]
	v_fma_f64 v[14:15], v[14:15], v[80:81], v[175:176]
	v_fma_f64 v[12:13], v[12:13], v[73:74], v[173:174]
	v_fma_f64 v[69:70], v[161:162], v[100:101], -v[102:103]
	v_fma_f64 v[73:74], v[155:156], v[131:132], -v[133:134]
	;; [unrolled: 1-line block ×3, first 2 shown]
	v_fma_f64 v[71:72], v[8:9], v[135:136], v[137:138]
	v_fma_f64 v[4:5], v[4:5], v[139:140], v[141:142]
	v_add_f64 v[80:81], v[0:1], -v[143:144]
	v_add_f64 v[8:9], v[50:51], -v[145:146]
	;; [unrolled: 1-line block ×15, first 2 shown]
	v_fma_f64 v[94:95], v[0:1], 2.0, -v[80:81]
	v_add_f64 v[86:87], v[80:81], v[8:9]
	v_fma_f64 v[42:43], v[42:43], 2.0, -v[26:27]
	v_add_f64 v[88:89], v[26:27], v[82:83]
	;; [unrolled: 2-line block ×4, first 2 shown]
	v_fma_f64 v[34:35], v[34:35], 2.0, -v[84:85]
	v_fma_f64 v[54:55], v[54:55], 2.0, -v[75:76]
	;; [unrolled: 1-line block ×8, first 2 shown]
	v_add_f64 v[14:15], v[22:23], -v[14:15]
	v_add_f64 v[12:13], v[52:53], -v[12:13]
	v_fma_f64 v[82:83], v[71:72], 2.0, -v[4:5]
	v_add_f64 v[4:5], v[56:57], -v[4:5]
	v_fma_f64 v[80:81], v[80:81], 2.0, -v[86:87]
	v_fma_f64 v[67:68], v[67:68], 2.0, -v[52:53]
	;; [unrolled: 1-line block ×5, first 2 shown]
	v_add_f64 v[44:45], v[94:95], -v[44:45]
	v_add_f64 v[74:75], v[0:1], -v[58:59]
	;; [unrolled: 1-line block ×3, first 2 shown]
	v_fma_f64 v[18:19], v[88:89], s[16:17], v[86:87]
	v_add_f64 v[16:17], v[65:66], -v[16:17]
	v_add_f64 v[34:35], v[69:70], -v[34:35]
	v_fma_f64 v[58:59], v[92:93], s[16:17], v[90:91]
	v_fma_f64 v[22:23], v[22:23], 2.0, -v[14:15]
	v_add_f64 v[76:77], v[40:41], -v[82:83]
	v_fma_f64 v[84:85], v[52:53], 2.0, -v[12:13]
	v_fma_f64 v[52:53], v[56:57], 2.0, -v[4:5]
	v_add_f64 v[96:97], v[67:68], -v[54:55]
	v_fma_f64 v[56:57], v[26:27], s[18:19], v[80:81]
	v_fma_f64 v[54:55], v[4:5], s[16:17], v[12:13]
	;; [unrolled: 1-line block ×3, first 2 shown]
	v_fma_f64 v[94:95], v[94:95], 2.0, -v[44:45]
	v_add_f64 v[100:101], v[44:45], v[74:75]
	v_fma_f64 v[98:99], v[42:43], 2.0, -v[72:73]
	v_fma_f64 v[18:19], v[14:15], s[16:17], v[18:19]
	v_fma_f64 v[65:66], v[65:66], 2.0, -v[16:17]
	v_add_f64 v[104:105], v[16:17], v[34:35]
	v_fma_f64 v[42:43], v[4:5], s[16:17], v[58:59]
	v_fma_f64 v[34:35], v[69:70], 2.0, -v[34:35]
	v_fma_f64 v[102:103], v[40:41], 2.0, -v[76:77]
	v_fma_f64 v[4:5], v[52:53], s[18:19], v[84:85]
	v_fma_f64 v[131:132], v[22:23], s[16:17], v[56:57]
	v_fma_f64 v[56:57], v[67:68], 2.0, -v[96:97]
	v_add_f64 v[67:68], v[96:97], -v[76:77]
	v_fma_f64 v[58:59], v[92:93], s[18:19], v[54:55]
	v_fma_f64 v[40:41], v[52:53], s[16:17], v[82:83]
	v_fma_f64 v[92:93], v[44:45], 2.0, -v[100:101]
	v_add_f64 v[69:70], v[94:95], -v[98:99]
	v_fma_f64 v[86:87], v[86:87], 2.0, -v[18:19]
	v_fma_f64 v[16:17], v[16:17], 2.0, -v[104:105]
	v_fma_f64 v[54:55], v[90:91], 2.0, -v[42:43]
	v_add_f64 v[44:45], v[65:66], -v[102:103]
	v_add3_u32 v102, 0, v61, v124
	v_fma_f64 v[76:77], v[20:21], s[18:19], v[4:5]
	v_fma_f64 v[4:5], v[104:105], s[16:17], v[100:101]
	v_fma_f64 v[20:21], v[80:81], 2.0, -v[131:132]
	v_add_f64 v[80:81], v[56:57], -v[34:35]
	v_fma_f64 v[34:35], v[96:97], 2.0, -v[67:68]
	v_fma_f64 v[82:83], v[12:13], 2.0, -v[58:59]
	v_fma_f64 v[52:53], v[24:25], 2.0, -v[40:41]
	v_fma_f64 v[24:25], v[42:43], s[14:15], v[18:19]
	v_fma_f64 v[96:97], v[40:41], s[10:11], v[131:132]
	v_fma_f64 v[12:13], v[94:95], 2.0, -v[69:70]
	v_fma_f64 v[90:91], v[16:17], s[18:19], v[92:93]
	v_fma_f64 v[94:95], v[54:55], s[6:7], v[86:87]
	v_fma_f64 v[65:66], v[65:66], 2.0, -v[44:45]
	v_fma_f64 v[84:85], v[84:85], 2.0, -v[76:77]
	v_fma_f64 v[133:134], v[67:68], s[16:17], v[4:5]
	v_fma_f64 v[98:99], v[52:53], s[4:5], v[20:21]
	;; [unrolled: 1-line block ×3, first 2 shown]
	v_add_f64 v[24:25], v[69:70], v[80:81]
	v_fma_f64 v[139:140], v[76:77], s[14:15], v[96:97]
	v_mul_f64 v[96:97], v[88:89], s[16:17]
	v_mul_f64 v[88:89], v[104:105], s[16:17]
	v_fma_f64 v[135:136], v[34:35], s[16:17], v[90:91]
	v_fma_f64 v[137:138], v[82:83], s[14:15], v[94:95]
	v_mul_f64 v[94:95], v[26:27], s[16:17]
	v_add_f64 v[65:66], v[12:13], -v[65:66]
	v_mul_f64 v[90:91], v[34:35], s[16:17]
	v_fma_f64 v[32:33], v[100:101], 2.0, -v[133:134]
	v_mul_f64 v[100:101], v[22:23], s[16:17]
	v_fma_f64 v[141:142], v[84:85], s[10:11], v[98:99]
	v_fma_f64 v[18:19], v[18:19], 2.0, -v[4:5]
	v_fma_f64 v[69:70], v[69:70], 2.0, -v[24:25]
	;; [unrolled: 1-line block ×3, first 2 shown]
	v_mul_f64 v[98:99], v[14:15], s[16:17]
	v_fma_f64 v[143:144], v[92:93], 2.0, -v[135:136]
	v_fma_f64 v[145:146], v[86:87], 2.0, -v[137:138]
	v_mul_f64 v[92:93], v[67:68], s[16:17]
	v_fma_f64 v[12:13], v[12:13], 2.0, -v[65:66]
	v_mul_f64 v[86:87], v[16:17], s[16:17]
	v_fma_f64 v[20:21], v[20:21], 2.0, -v[141:142]
	ds_write2_b64 v102, v[133:134], v[4:5] offset0:42 offset1:45
	ds_write2_b64 v102, v[32:33], v[18:19] offset0:18 offset1:21
	ds_write2_b64 v102, v[135:136], v[137:138] offset0:30 offset1:33
	ds_write2_b64 v102, v[24:25], v[139:140] offset0:36 offset1:39
	ds_write2_b64 v102, v[143:144], v[145:146] offset0:6 offset1:9
	ds_write2_b64 v102, v[69:70], v[131:132] offset0:12 offset1:15
	ds_write2_b64 v102, v[65:66], v[141:142] offset0:24 offset1:27
	ds_write2_b64 v102, v[12:13], v[20:21] offset1:3
	s_waitcnt lgkmcnt(0)
	s_barrier
	buffer_gl0_inv
	ds_read2_b64 v[16:19], v125 offset0:144 offset1:171
	ds_read2_b64 v[12:15], v60 offset0:124 offset1:160
	;; [unrolled: 1-line block ×4, first 2 shown]
	ds_read_b64 v[68:69], v126
	ds_read_b64 v[66:67], v127
	;; [unrolled: 1-line block ×4, first 2 shown]
	ds_read2_b64 v[32:35], v64 offset0:113 offset1:140
	ds_read_b64 v[64:65], v130
	s_and_saveexec_b32 s1, s0
	s_cbranch_execz .LBB0_21
; %bb.20:
	v_add_nc_u32_e32 v4, 0x400, v125
	ds_read2_b64 v[4:7], v4 offset0:7 offset1:151
	ds_read_b64 v[62:63], v125 offset:3384
.LBB0_21:
	s_or_b32 exec_lo, exec_lo, s1
	v_mul_f64 v[10:11], v[10:11], v[30:31]
	v_fma_f64 v[8:9], v[50:51], 2.0, -v[8:9]
	v_fma_f64 v[0:1], v[0:1], 2.0, -v[74:75]
	;; [unrolled: 1-line block ×3, first 2 shown]
	s_waitcnt lgkmcnt(0)
	s_barrier
	buffer_gl0_inv
	v_fma_f64 v[10:11], v[36:37], v[28:29], -v[10:11]
	v_add_f64 v[10:11], v[46:47], -v[10:11]
	v_add_f64 v[28:29], v[10:11], -v[38:39]
	v_fma_f64 v[30:31], v[46:47], 2.0, -v[10:11]
	v_fma_f64 v[10:11], v[10:11], 2.0, -v[28:29]
	v_add_f64 v[8:9], v[30:31], -v[8:9]
	v_add_f64 v[36:37], v[28:29], v[98:99]
	v_add_f64 v[38:39], v[10:11], -v[100:101]
	v_add_f64 v[46:47], v[8:9], -v[72:73]
	;; [unrolled: 1-line block ×3, first 2 shown]
	v_fma_f64 v[30:31], v[30:31], 2.0, -v[8:9]
	v_add_f64 v[38:39], v[38:39], -v[94:95]
	v_fma_f64 v[8:9], v[8:9], 2.0, -v[46:47]
	v_fma_f64 v[28:29], v[28:29], 2.0, -v[36:37]
	v_add_f64 v[50:51], v[30:31], -v[0:1]
	v_add_f64 v[0:1], v[46:47], v[92:93]
	v_fma_f64 v[58:59], v[58:59], s[14:15], v[36:37]
	v_fma_f64 v[10:11], v[10:11], 2.0, -v[38:39]
	v_add_f64 v[72:73], v[8:9], -v[90:91]
	v_fma_f64 v[74:75], v[82:83], s[6:7], v[28:29]
	v_fma_f64 v[76:77], v[76:77], s[10:11], v[38:39]
	v_fma_f64 v[30:31], v[30:31], 2.0, -v[50:51]
	v_add_f64 v[82:83], v[0:1], -v[88:89]
	v_fma_f64 v[0:1], v[42:43], s[6:7], v[58:59]
	v_add_f64 v[42:43], v[50:51], -v[44:45]
	v_fma_f64 v[80:81], v[84:85], s[4:5], v[10:11]
	;; [unrolled: 2-line block ×3, first 2 shown]
	v_fma_f64 v[40:41], v[40:41], s[4:5], v[76:77]
	v_add_f64 v[56:57], v[30:31], -v[56:57]
	v_fma_f64 v[46:47], v[46:47], 2.0, -v[82:83]
	v_fma_f64 v[36:37], v[36:37], 2.0, -v[0:1]
	;; [unrolled: 1-line block ×3, first 2 shown]
	v_add_nc_u32_e32 v72, 0x400, v125
	v_add_nc_u32_e32 v73, 0x800, v125
	v_fma_f64 v[52:53], v[52:53], s[6:7], v[80:81]
	v_fma_f64 v[8:9], v[8:9], 2.0, -v[44:45]
	v_fma_f64 v[28:29], v[28:29], 2.0, -v[54:55]
	;; [unrolled: 1-line block ×5, first 2 shown]
	ds_write2_b64 v102, v[82:83], v[0:1] offset0:42 offset1:45
	ds_write2_b64 v102, v[46:47], v[36:37] offset0:18 offset1:21
	;; [unrolled: 1-line block ×7, first 2 shown]
	ds_write2_b64 v102, v[30:31], v[10:11] offset1:3
	s_waitcnt lgkmcnt(0)
	s_barrier
	buffer_gl0_inv
	ds_read2_b64 v[36:39], v125 offset0:144 offset1:171
	ds_read2_b64 v[8:11], v72 offset0:124 offset1:160
	;; [unrolled: 1-line block ×4, first 2 shown]
	ds_read_b64 v[58:59], v126
	ds_read_b64 v[56:57], v127
	;; [unrolled: 1-line block ×4, first 2 shown]
	ds_read2_b64 v[28:31], v73 offset0:113 offset1:140
	ds_read_b64 v[52:53], v130
	s_and_saveexec_b32 s1, s0
	s_cbranch_execz .LBB0_23
; %bb.22:
	ds_read2_b64 v[0:3], v72 offset0:7 offset1:151
	ds_read_b64 v[48:49], v125 offset:3384
.LBB0_23:
	s_or_b32 exec_lo, exec_lo, s1
	v_lshlrev_b32_e32 v72, 1, v106
	v_mov_b32_e32 v73, 0
	v_subrev_nc_u32_e32 v76, 21, v106
	v_and_b32_e32 v77, 0xff, v122
	v_cmp_gt_u32_e64 s1, 21, v106
	v_and_b32_e32 v82, 0xff, v123
	v_lshlrev_b64 v[74:75], 4, v[72:73]
	v_and_b32_e32 v83, 0xff, v119
	v_add_nc_u32_e32 v72, 12, v72
	v_cndmask_b32_e64 v180, v76, v120, s1
	v_mul_lo_u16 v76, 0xab, v77
	v_mul_lo_u16 v77, 0xab, v82
	v_add_co_u32 v80, s1, s8, v74
	v_add_co_ci_u32_e64 v81, s1, s9, v75, s1
	v_lshrrev_b16 v181, 13, v76
	v_mul_lo_u16 v76, 0xab, v83
	v_mov_b32_e32 v75, v73
	v_lshlrev_b64 v[72:73], 4, v[72:73]
	v_lshrrev_b16 v82, 13, v77
	v_lshlrev_b32_e32 v74, 1, v180
	v_lshrrev_b16 v84, 13, v76
	v_mul_lo_u16 v83, v181, 48
	v_mov_b32_e32 v85, 5
	v_add_co_u32 v76, s1, s8, v72
	v_mul_lo_u16 v72, v82, 48
	v_lshlrev_b64 v[74:75], 4, v[74:75]
	v_add_co_ci_u32_e64 v77, s1, s9, v73, s1
	v_mul_lo_u16 v73, v84, 48
	v_sub_nc_u16 v182, v122, v83
	v_sub_nc_u16 v183, v123, v72
	v_add_co_u32 v82, s1, s8, v74
	v_sub_nc_u16 v131, v119, v73
	v_add_co_ci_u32_e64 v83, s1, s9, v75, s1
	v_lshlrev_b32_sdwa v84, v85, v182 dst_sel:DWORD dst_unused:UNUSED_PAD src0_sel:DWORD src1_sel:BYTE_0
	s_clause 0x3
	global_load_dwordx4 v[72:75], v[80:81], off offset:720
	global_load_dwordx4 v[132:135], v[80:81], off offset:736
	;; [unrolled: 1-line block ×4, first 2 shown]
	v_lshlrev_b32_sdwa v76, v85, v183 dst_sel:DWORD dst_unused:UNUSED_PAD src0_sel:DWORD src1_sel:BYTE_0
	v_lshlrev_b32_sdwa v77, v85, v131 dst_sel:DWORD dst_unused:UNUSED_PAD src0_sel:DWORD src1_sel:BYTE_0
	s_clause 0x7
	global_load_dwordx4 v[144:147], v[82:83], off offset:720
	global_load_dwordx4 v[148:151], v[82:83], off offset:736
	global_load_dwordx4 v[152:155], v84, s[8:9] offset:720
	global_load_dwordx4 v[156:159], v76, s[8:9] offset:720
	;; [unrolled: 1-line block ×6, first 2 shown]
	v_cmp_lt_u32_e64 s1, 20, v106
	s_mov_b32 s4, 0xe8584caa
	s_mov_b32 s5, 0xbfebb67a
	;; [unrolled: 1-line block ×4, first 2 shown]
	s_waitcnt vmcnt(0) lgkmcnt(0)
	s_barrier
	buffer_gl0_inv
	v_mul_f64 v[76:77], v[36:37], v[74:75]
	v_mul_f64 v[82:83], v[10:11], v[134:135]
	;; [unrolled: 1-line block ×23, first 2 shown]
	v_fma_f64 v[98:99], v[16:17], v[72:73], v[76:77]
	v_fma_f64 v[100:101], v[14:15], v[132:133], v[82:83]
	;; [unrolled: 1-line block ×6, first 2 shown]
	v_mul_f64 v[14:15], v[62:63], v[174:175]
	v_fma_f64 v[90:91], v[22:23], v[152:153], v[94:95]
	v_fma_f64 v[86:87], v[12:13], v[156:157], v[96:97]
	;; [unrolled: 1-line block ×6, first 2 shown]
	v_fma_f64 v[102:103], v[36:37], v[72:73], -v[74:75]
	v_fma_f64 v[6:7], v[10:11], v[132:133], -v[104:105]
	;; [unrolled: 1-line block ×10, first 2 shown]
	v_add_f64 v[10:11], v[98:99], v[100:101]
	v_fma_f64 v[104:105], v[2:3], v[168:169], -v[170:171]
	v_add_f64 v[12:13], v[84:85], v[82:83]
	v_add_f64 v[20:21], v[68:69], v[98:99]
	;; [unrolled: 1-line block ×3, first 2 shown]
	v_fma_f64 v[30:31], v[48:49], v[172:173], -v[14:15]
	v_add_f64 v[28:29], v[66:67], v[88:89]
	v_add_f64 v[72:73], v[60:61], v[90:91]
	;; [unrolled: 1-line block ×7, first 2 shown]
	v_add_f64 v[22:23], v[102:103], -v[6:7]
	v_add_f64 v[24:25], v[70:71], v[84:85]
	v_add_f64 v[26:27], v[44:45], -v[32:33]
	v_cndmask_b32_e64 v132, 0, 0x480, s1
	v_add_f64 v[48:49], v[42:43], -v[36:37]
	v_and_b32_e32 v140, 0xffff, v181
	v_lshlrev_b32_e32 v139, 3, v180
	v_add_nc_u32_e32 v138, 0, v132
	v_fma_f64 v[68:69], v[10:11], -0.5, v[68:69]
	v_mov_b32_e32 v10, 3
	v_fma_f64 v[11:12], v[12:13], -0.5, v[70:71]
	v_add_f64 v[70:71], v[46:47], -v[8:9]
	v_fma_f64 v[16:17], v[16:17], -0.5, v[66:67]
	v_add_f64 v[66:67], v[40:41], -v[38:39]
	v_add_f64 v[20:21], v[20:21], v[100:101]
	v_add_f64 v[28:29], v[28:29], v[92:93]
	v_fma_f64 v[60:61], v[2:3], -0.5, v[60:61]
	v_fma_f64 v[13:14], v[14:15], -0.5, v[64:65]
	v_add_f64 v[64:65], v[104:105], -v[30:31]
	v_fma_f64 v[18:19], v[18:19], -0.5, v[4:5]
	v_add_f64 v[2:3], v[76:77], v[62:63]
	v_add_f64 v[72:73], v[72:73], v[96:97]
	;; [unrolled: 1-line block ×4, first 2 shown]
	v_fma_f64 v[76:77], v[22:23], s[4:5], v[68:69]
	v_fma_f64 v[22:23], v[22:23], s[6:7], v[68:69]
	;; [unrolled: 1-line block ×6, first 2 shown]
	v_lshlrev_b32_sdwa v17, v10, v183 dst_sel:DWORD dst_unused:UNUSED_PAD src0_sel:DWORD src1_sel:BYTE_0
	v_add3_u32 v49, v138, v139, v124
	v_fma_f64 v[26:27], v[66:67], s[4:5], v[60:61]
	v_fma_f64 v[134:135], v[66:67], s[6:7], v[60:61]
	;; [unrolled: 1-line block ×6, first 2 shown]
	v_mad_u32_u24 v18, 0x480, v140, 0
	v_lshlrev_b32_sdwa v19, v10, v182 dst_sel:DWORD dst_unused:UNUSED_PAD src0_sel:DWORD src1_sel:BYTE_0
	v_add3_u32 v48, 0, v17, v124
	v_add3_u32 v60, v18, v19, v124
	v_add_nc_u32_e32 v17, 0x800, v48
	ds_write2_b64 v125, v[20:21], v[76:77] offset1:48
	ds_write_b64 v125, v[22:23] offset:768
	ds_write2_b64 v49, v[28:29], v[132:133] offset1:48
	ds_write_b64 v49, v[15:16] offset:768
	ds_write2_b64 v125, v[24:25], v[68:69] offset0:150 offset1:198
	ds_write_b64 v125, v[11:12] offset:1968
	ds_write2_b64 v60, v[72:73], v[26:27] offset1:48
	ds_write_b64 v60, v[134:135] offset:768
	ds_write2_b64 v17, v[74:75], v[136:137] offset0:32 offset1:80
	ds_write_b64 v48, v[13:14] offset:3072
	s_and_saveexec_b32 s1, s0
	s_cbranch_execz .LBB0_25
; %bb.24:
	v_lshlrev_b32_sdwa v10, v10, v131 dst_sel:DWORD dst_unused:UNUSED_PAD src0_sel:DWORD src1_sel:BYTE_0
	v_add3_u32 v10, 0, v10, v124
	v_add_nc_u32_e32 v11, 0x800, v10
	ds_write2_b64 v11, v[2:3], v[4:5] offset0:32 offset1:80
	ds_write_b64 v10, v[66:67] offset:3072
.LBB0_25:
	s_or_b32 exec_lo, exec_lo, s1
	v_add_nc_u32_e32 v65, 0x400, v125
	v_add_nc_u32_e32 v26, 0x800, v125
	s_waitcnt lgkmcnt(0)
	s_barrier
	buffer_gl0_inv
	ds_read2_b64 v[10:13], v125 offset0:144 offset1:171
	ds_read2_b64 v[22:25], v65 offset0:124 offset1:160
	;; [unrolled: 1-line block ×4, first 2 shown]
	ds_read_b64 v[76:77], v126
	ds_read_b64 v[72:73], v127
	ds_read_b64 v[70:71], v128
	ds_read_b64 v[68:69], v129
	ds_read2_b64 v[26:29], v26 offset0:113 offset1:140
	ds_read_b64 v[74:75], v130
	v_add_nc_u32_e32 v61, 48, v125
	v_add_nc_u32_e32 v64, 0x600, v125
	s_and_saveexec_b32 s1, s0
	s_cbranch_execz .LBB0_27
; %bb.26:
	ds_read2_b64 v[2:5], v65 offset0:7 offset1:151
	ds_read_b64 v[66:67], v125 offset:3384
.LBB0_27:
	s_or_b32 exec_lo, exec_lo, s1
	v_add_f64 v[132:133], v[102:103], v[6:7]
	v_add_f64 v[142:143], v[104:105], v[30:31]
	;; [unrolled: 1-line block ×7, first 2 shown]
	v_add_f64 v[98:99], v[98:99], -v[100:101]
	v_add_f64 v[40:41], v[50:51], v[40:41]
	v_add_f64 v[46:47], v[52:53], v[46:47]
	;; [unrolled: 1-line block ×3, first 2 shown]
	v_add_f64 v[34:35], v[34:35], -v[62:63]
	v_add_f64 v[42:43], v[56:57], v[42:43]
	v_add_f64 v[44:45], v[54:55], v[44:45]
	v_add_f64 v[88:89], v[88:89], -v[92:93]
	v_add_f64 v[82:83], v[84:85], -v[82:83]
	;; [unrolled: 1-line block ×4, first 2 shown]
	s_mov_b32 s4, 0xe8584caa
	s_mov_b32 s5, 0x3febb67a
	;; [unrolled: 1-line block ×4, first 2 shown]
	v_fma_f64 v[58:59], v[132:133], -0.5, v[58:59]
	v_fma_f64 v[0:1], v[142:143], -0.5, v[0:1]
	;; [unrolled: 1-line block ×6, first 2 shown]
	v_add_f64 v[62:63], v[102:103], v[6:7]
	s_waitcnt lgkmcnt(0)
	v_add_f64 v[38:39], v[40:41], v[38:39]
	v_add_f64 v[40:41], v[46:47], v[8:9]
	;; [unrolled: 1-line block ×3, first 2 shown]
	s_barrier
	v_add_f64 v[36:37], v[42:43], v[36:37]
	v_add_f64 v[32:33], v[44:45], v[32:33]
	buffer_gl0_inv
	v_fma_f64 v[30:31], v[98:99], s[4:5], v[58:59]
	v_fma_f64 v[8:9], v[34:35], s[4:5], v[0:1]
	;; [unrolled: 1-line block ×12, first 2 shown]
	v_add_nc_u32_e32 v34, 0x800, v48
	ds_write2_b64 v125, v[62:63], v[30:31] offset1:48
	ds_write_b64 v125, v[42:43] offset:768
	ds_write2_b64 v49, v[36:37], v[44:45] offset1:48
	ds_write_b64 v49, v[46:47] offset:768
	ds_write_b64 v64, v[56:57] offset:48
	ds_write2_b64 v61, v[32:33], v[54:55] offset0:144 offset1:240
	ds_write2_b64 v60, v[38:39], v[58:59] offset1:48
	ds_write_b64 v60, v[50:51] offset:768
	ds_write2_b64 v34, v[40:41], v[82:83] offset0:32 offset1:80
	ds_write_b64 v48, v[52:53] offset:3072
	s_and_saveexec_b32 s1, s0
	s_cbranch_execz .LBB0_29
; %bb.28:
	v_mov_b32_e32 v30, 3
	v_lshlrev_b32_sdwa v30, v30, v131 dst_sel:DWORD dst_unused:UNUSED_PAD src0_sel:DWORD src1_sel:BYTE_0
	v_add3_u32 v30, 0, v30, v124
	v_add_nc_u32_e32 v31, 0x800, v30
	ds_write2_b64 v31, v[6:7], v[8:9] offset0:32 offset1:80
	ds_write_b64 v30, v[0:1] offset:3072
.LBB0_29:
	s_or_b32 exec_lo, exec_lo, s1
	v_add_nc_u32_e32 v50, 0x400, v125
	v_add_nc_u32_e32 v46, 0x800, v125
	s_waitcnt lgkmcnt(0)
	s_barrier
	buffer_gl0_inv
	ds_read2_b64 v[30:33], v125 offset0:144 offset1:171
	ds_read2_b64 v[42:45], v50 offset0:124 offset1:160
	;; [unrolled: 1-line block ×4, first 2 shown]
	ds_read_b64 v[92:93], v126
	ds_read_b64 v[84:85], v127
	;; [unrolled: 1-line block ×4, first 2 shown]
	ds_read2_b64 v[46:49], v46 offset0:113 offset1:140
	ds_read_b64 v[90:91], v130
	s_and_saveexec_b32 s1, s0
	s_cbranch_execz .LBB0_31
; %bb.30:
	ds_read2_b64 v[6:9], v50 offset0:7 offset1:151
	ds_read_b64 v[0:1], v125 offset:3384
.LBB0_31:
	s_or_b32 exec_lo, exec_lo, s1
	s_and_saveexec_b32 s1, vcc_lo
	s_cbranch_execz .LBB0_34
; %bb.32:
	v_lshlrev_b32_e32 v82, 1, v123
	v_mov_b32_e32 v83, 0
	v_mad_u64_u32 v[132:133], null, s2, v117, 0
	v_mad_u64_u32 v[134:135], null, s2, v118, 0
	v_lshlrev_b64 v[50:51], 4, v[82:83]
	v_lshlrev_b32_e32 v82, 1, v122
	v_mad_u64_u32 v[136:137], null, s2, v110, 0
	v_mad_u64_u32 v[138:139], null, s2, v115, 0
	v_add_co_u32 v54, vcc_lo, s8, v50
	v_add_co_ci_u32_e32 v55, vcc_lo, s9, v51, vcc_lo
	v_lshlrev_b64 v[50:51], 4, v[82:83]
	v_add_co_u32 v52, vcc_lo, 0x8d0, v54
	v_add_co_ci_u32_e32 v53, vcc_lo, 0, v55, vcc_lo
	v_lshlrev_b32_e32 v82, 1, v121
	v_add_co_u32 v56, vcc_lo, s8, v50
	v_add_co_ci_u32_e32 v57, vcc_lo, s9, v51, vcc_lo
	v_add_co_u32 v50, vcc_lo, 0x800, v54
	v_add_co_ci_u32_e32 v51, vcc_lo, 0, v55, vcc_lo
	v_add_co_u32 v54, vcc_lo, 0x800, v56
	v_lshlrev_b64 v[94:95], 4, v[82:83]
	v_add_co_ci_u32_e32 v55, vcc_lo, 0, v57, vcc_lo
	v_add_co_u32 v56, vcc_lo, 0x8d0, v56
	v_add_co_ci_u32_e32 v57, vcc_lo, 0, v57, vcc_lo
	v_add_co_u32 v102, vcc_lo, s8, v94
	v_add_co_ci_u32_e32 v103, vcc_lo, s9, v95, vcc_lo
	v_lshlrev_b32_e32 v82, 1, v120
	v_add_co_u32 v120, vcc_lo, 0x8d0, v102
	v_add_co_ci_u32_e32 v121, vcc_lo, 0, v103, vcc_lo
	v_add_co_u32 v98, vcc_lo, 0x8d0, v80
	v_lshlrev_b64 v[94:95], 4, v[82:83]
	v_add_co_ci_u32_e32 v99, vcc_lo, 0, v81, vcc_lo
	v_add_co_u32 v80, vcc_lo, 0x800, v80
	v_add_co_ci_u32_e32 v81, vcc_lo, 0, v81, vcc_lo
	v_add_co_u32 v82, vcc_lo, s8, v94
	v_add_co_ci_u32_e32 v104, vcc_lo, s9, v95, vcc_lo
	s_clause 0x5
	global_load_dwordx4 v[58:61], v[50:51], off offset:208
	global_load_dwordx4 v[62:65], v[52:53], off offset:16
	;; [unrolled: 1-line block ×6, first 2 shown]
	v_add_co_u32 v80, vcc_lo, 0x800, v102
	v_add_co_ci_u32_e32 v81, vcc_lo, 0, v103, vcc_lo
	v_add_co_u32 v124, vcc_lo, 0x800, v82
	v_add_co_ci_u32_e32 v125, vcc_lo, 0, v104, vcc_lo
	;; [unrolled: 2-line block ×3, first 2 shown]
	s_clause 0x3
	global_load_dwordx4 v[102:105], v[80:81], off offset:208
	global_load_dwordx4 v[120:123], v[120:121], off offset:16
	;; [unrolled: 1-line block ×4, first 2 shown]
	v_mul_hi_u32 v154, 0x38e38e39, v109
	v_mad_u64_u32 v[140:141], null, s2, v116, 0
	v_mad_u64_u32 v[142:143], null, s2, v108, 0
	v_mad_u64_u32 v[144:145], null, s2, v113, 0
	v_mad_u64_u32 v[146:147], null, s2, v114, 0
	v_mad_u64_u32 v[148:149], null, s2, v107, 0
	v_mad_u64_u32 v[80:81], null, s2, v106, 0
	v_mad_u64_u32 v[150:151], null, s2, v111, 0
	v_mad_u64_u32 v[152:153], null, s2, v112, 0
	v_mov_b32_e32 v82, v133
	v_mov_b32_e32 v133, v135
	;; [unrolled: 1-line block ×4, first 2 shown]
	v_lshrrev_b32_e32 v160, 5, v154
	v_mov_b32_e32 v139, v141
	v_mov_b32_e32 v141, v143
	;; [unrolled: 1-line block ×7, first 2 shown]
	v_mad_u64_u32 v[153:154], null, s3, v106, v[81:82]
	v_mad_u64_u32 v[154:155], null, s3, v117, v[82:83]
	;; [unrolled: 1-line block ×5, first 2 shown]
	v_mad_u32_u24 v118, 0x120, v160, v109
	v_mad_u64_u32 v[157:158], null, s3, v108, v[141:142]
	v_mad_u64_u32 v[107:108], null, s3, v107, v[147:148]
	;; [unrolled: 1-line block ×7, first 2 shown]
	v_add_nc_u32_e32 v159, 0x90, v118
	v_add_nc_u32_e32 v160, 0x120, v118
	v_mad_u64_u32 v[115:116], null, s3, v116, v[139:140]
	v_mov_b32_e32 v149, v107
	v_mov_b32_e32 v151, v108
	v_mad_u64_u32 v[107:108], null, s2, v159, 0
	v_mov_b32_e32 v147, v113
	v_mad_u64_u32 v[112:113], null, s2, v160, 0
	v_mov_b32_e32 v135, v117
	v_mov_b32_e32 v139, v156
	;; [unrolled: 1-line block ×10, first 2 shown]
	v_lshlrev_b64 v[116:117], 4, v[134:135]
	v_lshlrev_b64 v[134:135], 4, v[138:139]
	;; [unrolled: 1-line block ×5, first 2 shown]
	v_mad_u64_u32 v[150:151], null, s3, v118, v[82:83]
	v_mov_b32_e32 v82, v108
	v_mov_b32_e32 v108, v113
	v_lshlrev_b64 v[114:115], 4, v[132:133]
	v_lshlrev_b64 v[132:133], 4, v[136:137]
	;; [unrolled: 1-line block ×6, first 2 shown]
	v_mad_u64_u32 v[151:152], null, s3, v159, v[82:83]
	v_mad_u64_u32 v[152:153], null, s3, v160, v[108:109]
	v_mov_b32_e32 v111, v150
	v_lshlrev_b64 v[80:81], 4, v[80:81]
	v_add_co_u32 v78, vcc_lo, s12, v78
	v_mov_b32_e32 v108, v151
	v_add_co_ci_u32_e32 v79, vcc_lo, s13, v79, vcc_lo
	v_mov_b32_e32 v113, v152
	v_add_co_u32 v80, vcc_lo, v78, v80
	v_add_co_ci_u32_e32 v81, vcc_lo, v79, v81, vcc_lo
	v_add_co_u32 v114, vcc_lo, v78, v114
	v_add_co_ci_u32_e32 v115, vcc_lo, v79, v115, vcc_lo
	;; [unrolled: 2-line block ×10, first 2 shown]
	v_add_co_u32 v146, vcc_lo, v78, v146
	v_lshlrev_b64 v[109:110], 4, v[110:111]
	v_add_co_ci_u32_e32 v147, vcc_lo, v79, v147, vcc_lo
	v_add_co_u32 v148, vcc_lo, v78, v148
	v_add_co_ci_u32_e32 v149, vcc_lo, v79, v149, vcc_lo
	s_mov_b32 s4, 0xe8584caa
	s_mov_b32 s5, 0xbfebb67a
	;; [unrolled: 1-line block ×4, first 2 shown]
	v_lshlrev_b64 v[107:108], 4, v[107:108]
	v_lshlrev_b64 v[111:112], 4, v[112:113]
	s_waitcnt vmcnt(9)
	v_mul_f64 v[154:155], v[22:23], v[60:61]
	s_waitcnt vmcnt(8)
	v_mul_f64 v[156:157], v[28:29], v[64:65]
	s_waitcnt vmcnt(7)
	v_mul_f64 v[158:159], v[20:21], v[52:53]
	s_waitcnt vmcnt(5)
	v_mul_f64 v[150:151], v[10:11], v[96:97]
	s_waitcnt vmcnt(4)
	v_mul_f64 v[152:153], v[24:25], v[100:101]
	s_waitcnt lgkmcnt(9)
	v_mul_f64 v[96:97], v[30:31], v[96:97]
	s_waitcnt lgkmcnt(8)
	v_mul_f64 v[100:101], v[44:45], v[100:101]
	;; [unrolled: 2-line block ×3, first 2 shown]
	v_mul_f64 v[160:161], v[26:27], v[56:57]
	s_waitcnt lgkmcnt(1)
	v_mul_f64 v[56:57], v[46:47], v[56:57]
	v_mul_f64 v[60:61], v[42:43], v[60:61]
	;; [unrolled: 1-line block ×3, first 2 shown]
	s_waitcnt vmcnt(3)
	v_mul_f64 v[162:163], v[18:19], v[104:105]
	s_waitcnt vmcnt(2)
	v_mul_f64 v[164:165], v[16:17], v[122:123]
	;; [unrolled: 2-line block ×4, first 2 shown]
	v_mul_f64 v[126:127], v[32:33], v[126:127]
	v_mul_f64 v[130:131], v[34:35], v[130:131]
	;; [unrolled: 1-line block ×4, first 2 shown]
	v_fma_f64 v[42:43], v[42:43], v[58:59], -v[154:155]
	v_fma_f64 v[48:49], v[48:49], v[62:63], -v[156:157]
	;; [unrolled: 1-line block ×5, first 2 shown]
	v_fma_f64 v[10:11], v[10:11], v[94:95], v[96:97]
	v_fma_f64 v[24:25], v[24:25], v[98:99], v[100:101]
	;; [unrolled: 1-line block ×3, first 2 shown]
	v_fma_f64 v[46:47], v[46:47], v[54:55], -v[160:161]
	v_fma_f64 v[26:27], v[26:27], v[54:55], v[56:57]
	v_fma_f64 v[22:23], v[22:23], v[58:59], v[60:61]
	;; [unrolled: 1-line block ×3, first 2 shown]
	v_add_co_u32 v94, vcc_lo, v78, v109
	v_fma_f64 v[38:39], v[38:39], v[102:103], -v[162:163]
	v_fma_f64 v[36:37], v[36:37], v[120:121], -v[164:165]
	;; [unrolled: 1-line block ×4, first 2 shown]
	v_fma_f64 v[50:51], v[12:13], v[124:125], v[126:127]
	v_fma_f64 v[52:53], v[14:15], v[128:129], v[130:131]
	v_fma_f64 v[18:19], v[18:19], v[102:103], v[104:105]
	v_fma_f64 v[54:55], v[16:17], v[120:121], v[122:123]
	v_add_co_ci_u32_e32 v95, vcc_lo, v79, v110, vcc_lo
	v_add_f64 v[60:61], v[42:43], v[48:49]
	v_add_f64 v[14:15], v[92:93], v[30:31]
	;; [unrolled: 1-line block ×7, first 2 shown]
	v_add_f64 v[122:123], v[40:41], -v[46:47]
	v_add_f64 v[124:125], v[20:21], v[26:27]
	v_add_f64 v[96:97], v[22:23], v[28:29]
	v_add_f64 v[58:59], v[10:11], -v[24:25]
	v_add_f64 v[30:31], v[30:31], -v[44:45]
	;; [unrolled: 1-line block ×3, first 2 shown]
	v_add_f64 v[100:101], v[38:39], v[36:37]
	v_add_f64 v[22:23], v[74:75], v[22:23]
	;; [unrolled: 1-line block ×8, first 2 shown]
	s_waitcnt lgkmcnt(0)
	v_add_f64 v[64:65], v[90:91], v[42:43]
	v_fma_f64 v[60:61], v[60:61], -0.5, v[90:91]
	v_add_f64 v[50:51], v[50:51], -v[52:53]
	v_fma_f64 v[92:93], v[12:13], -0.5, v[92:93]
	v_add_f64 v[12:13], v[14:15], v[44:45]
	v_fma_f64 v[44:45], v[16:17], -0.5, v[76:77]
	v_add_f64 v[10:11], v[56:57], v[24:25]
	v_add_f64 v[56:57], v[86:87], v[38:39]
	v_add_f64 v[90:91], v[32:33], -v[34:35]
	v_add_f64 v[128:129], v[70:71], v[18:19]
	v_add_f64 v[76:77], v[18:19], -v[54:55]
	v_add_f64 v[38:39], v[38:39], -v[36:37]
	;; [unrolled: 1-line block ×3, first 2 shown]
	v_fma_f64 v[88:89], v[98:99], -0.5, v[88:89]
	v_fma_f64 v[86:87], v[100:101], -0.5, v[86:87]
	v_add_f64 v[20:21], v[120:121], v[46:47]
	v_fma_f64 v[84:85], v[102:103], -0.5, v[84:85]
	v_fma_f64 v[46:47], v[124:125], -0.5, v[68:69]
	;; [unrolled: 1-line block ×3, first 2 shown]
	v_add_f64 v[42:43], v[42:43], -v[48:49]
	v_fma_f64 v[70:71], v[40:41], -0.5, v[70:71]
	v_fma_f64 v[74:75], v[96:97], -0.5, v[74:75]
	v_add_f64 v[14:15], v[22:23], v[28:29]
	v_add_f64 v[18:19], v[126:127], v[26:27]
	v_fma_f64 v[40:41], v[62:63], s[4:5], v[60:61]
	v_fma_f64 v[28:29], v[58:59], s[6:7], v[92:93]
	;; [unrolled: 1-line block ×5, first 2 shown]
	v_add_f64 v[32:33], v[56:57], v[36:37]
	v_add_f64 v[36:37], v[130:131], v[34:35]
	;; [unrolled: 1-line block ×3, first 2 shown]
	v_fma_f64 v[44:45], v[62:63], s[6:7], v[60:61]
	v_add_f64 v[30:31], v[128:129], v[54:55]
	v_add_f64 v[16:17], v[64:65], v[48:49]
	v_fma_f64 v[48:49], v[104:105], s[4:5], v[88:89]
	v_fma_f64 v[64:65], v[76:77], s[6:7], v[86:87]
	;; [unrolled: 1-line block ×14, first 2 shown]
	v_add_co_u32 v72, vcc_lo, v78, v107
	v_add_co_ci_u32_e32 v73, vcc_lo, v79, v108, vcc_lo
	v_add_co_u32 v74, vcc_lo, v78, v111
	v_add_co_ci_u32_e32 v75, vcc_lo, v79, v112, vcc_lo
	global_store_dwordx4 v[80:81], v[10:13], off
	global_store_dwordx4 v[114:115], v[26:29], off
	global_store_dwordx4 v[116:117], v[22:25], off
	global_store_dwordx4 v[132:133], v[34:37], off
	global_store_dwordx4 v[134:135], v[58:61], off
	global_store_dwordx4 v[136:137], v[54:57], off
	global_store_dwordx4 v[138:139], v[30:33], off
	global_store_dwordx4 v[140:141], v[62:65], off
	global_store_dwordx4 v[142:143], v[50:53], off
	global_store_dwordx4 v[144:145], v[18:21], off
	global_store_dwordx4 v[146:147], v[68:71], off
	global_store_dwordx4 v[148:149], v[46:49], off
	global_store_dwordx4 v[94:95], v[14:17], off
	global_store_dwordx4 v[72:73], v[42:45], off
	global_store_dwordx4 v[74:75], v[38:41], off
	s_and_b32 exec_lo, exec_lo, s0
	s_cbranch_execz .LBB0_34
; %bb.33:
	v_add_nc_u32_e32 v10, -9, v106
	v_add_nc_u32_e32 v30, 0x117, v106
	v_add_nc_u32_e32 v31, 0x1a7, v106
	v_cndmask_b32_e64 v10, v10, v119, s0
	v_lshlrev_b32_e32 v82, 1, v10
	v_lshlrev_b64 v[10:11], 4, v[82:83]
	v_add_co_u32 v12, vcc_lo, s8, v10
	v_add_co_ci_u32_e32 v13, vcc_lo, s9, v11, vcc_lo
	v_add_co_u32 v10, vcc_lo, 0x800, v12
	v_add_co_ci_u32_e32 v11, vcc_lo, 0, v13, vcc_lo
	;; [unrolled: 2-line block ×3, first 2 shown]
	s_clause 0x1
	global_load_dwordx4 v[10:13], v[10:11], off offset:208
	global_load_dwordx4 v[14:17], v[14:15], off offset:16
	s_waitcnt vmcnt(1)
	v_mul_f64 v[18:19], v[8:9], v[12:13]
	s_waitcnt vmcnt(0)
	v_mul_f64 v[20:21], v[0:1], v[16:17]
	v_mul_f64 v[12:13], v[4:5], v[12:13]
	;; [unrolled: 1-line block ×3, first 2 shown]
	v_fma_f64 v[4:5], v[4:5], v[10:11], v[18:19]
	v_fma_f64 v[18:19], v[66:67], v[14:15], v[20:21]
	v_fma_f64 v[8:9], v[8:9], v[10:11], -v[12:13]
	v_fma_f64 v[10:11], v[0:1], v[14:15], -v[16:17]
	v_mad_u64_u32 v[14:15], null, s2, v119, 0
	v_mad_u64_u32 v[16:17], null, s2, v30, 0
	;; [unrolled: 1-line block ×3, first 2 shown]
	v_add_f64 v[22:23], v[2:3], v[4:5]
	v_add_f64 v[0:1], v[4:5], v[18:19]
	v_add_f64 v[28:29], v[4:5], -v[18:19]
	v_add_f64 v[12:13], v[8:9], v[10:11]
	v_add_f64 v[24:25], v[8:9], -v[10:11]
	v_add_f64 v[8:9], v[6:7], v[8:9]
	v_fma_f64 v[26:27], v[0:1], -0.5, v[2:3]
	v_mad_u64_u32 v[2:3], null, s3, v119, v[15:16]
	v_fma_f64 v[12:13], v[12:13], -0.5, v[6:7]
	v_mov_b32_e32 v0, v17
	v_mov_b32_e32 v1, v21
	;; [unrolled: 1-line block ×3, first 2 shown]
	v_mad_u64_u32 v[3:4], null, s3, v30, v[0:1]
	v_mad_u64_u32 v[0:1], null, s3, v31, v[1:2]
	v_mov_b32_e32 v17, v3
	v_add_f64 v[2:3], v[8:9], v[10:11]
	v_mov_b32_e32 v21, v0
	v_add_f64 v[0:1], v[22:23], v[18:19]
	v_fma_f64 v[4:5], v[24:25], s[4:5], v[26:27]
	v_fma_f64 v[8:9], v[24:25], s[6:7], v[26:27]
	;; [unrolled: 1-line block ×4, first 2 shown]
	v_lshlrev_b64 v[12:13], 4, v[14:15]
	v_lshlrev_b64 v[14:15], 4, v[16:17]
	v_lshlrev_b64 v[16:17], 4, v[20:21]
	v_add_co_u32 v12, vcc_lo, v78, v12
	v_add_co_ci_u32_e32 v13, vcc_lo, v79, v13, vcc_lo
	v_add_co_u32 v14, vcc_lo, v78, v14
	v_add_co_ci_u32_e32 v15, vcc_lo, v79, v15, vcc_lo
	;; [unrolled: 2-line block ×3, first 2 shown]
	global_store_dwordx4 v[12:13], v[0:3], off
	global_store_dwordx4 v[14:15], v[4:7], off
	;; [unrolled: 1-line block ×3, first 2 shown]
.LBB0_34:
	s_endpgm
	.section	.rodata,"a",@progbits
	.p2align	6, 0x0
	.amdhsa_kernel fft_rtc_back_len432_factors_3_16_3_3_wgs_54_tpt_27_halfLds_dp_ip_CI_sbrr_dirReg
		.amdhsa_group_segment_fixed_size 0
		.amdhsa_private_segment_fixed_size 0
		.amdhsa_kernarg_size 88
		.amdhsa_user_sgpr_count 6
		.amdhsa_user_sgpr_private_segment_buffer 1
		.amdhsa_user_sgpr_dispatch_ptr 0
		.amdhsa_user_sgpr_queue_ptr 0
		.amdhsa_user_sgpr_kernarg_segment_ptr 1
		.amdhsa_user_sgpr_dispatch_id 0
		.amdhsa_user_sgpr_flat_scratch_init 0
		.amdhsa_user_sgpr_private_segment_size 0
		.amdhsa_wavefront_size32 1
		.amdhsa_uses_dynamic_stack 0
		.amdhsa_system_sgpr_private_segment_wavefront_offset 0
		.amdhsa_system_sgpr_workgroup_id_x 1
		.amdhsa_system_sgpr_workgroup_id_y 0
		.amdhsa_system_sgpr_workgroup_id_z 0
		.amdhsa_system_sgpr_workgroup_info 0
		.amdhsa_system_vgpr_workitem_id 0
		.amdhsa_next_free_vgpr 195
		.amdhsa_next_free_sgpr 23
		.amdhsa_reserve_vcc 1
		.amdhsa_reserve_flat_scratch 0
		.amdhsa_float_round_mode_32 0
		.amdhsa_float_round_mode_16_64 0
		.amdhsa_float_denorm_mode_32 3
		.amdhsa_float_denorm_mode_16_64 3
		.amdhsa_dx10_clamp 1
		.amdhsa_ieee_mode 1
		.amdhsa_fp16_overflow 0
		.amdhsa_workgroup_processor_mode 1
		.amdhsa_memory_ordered 1
		.amdhsa_forward_progress 0
		.amdhsa_shared_vgpr_count 0
		.amdhsa_exception_fp_ieee_invalid_op 0
		.amdhsa_exception_fp_denorm_src 0
		.amdhsa_exception_fp_ieee_div_zero 0
		.amdhsa_exception_fp_ieee_overflow 0
		.amdhsa_exception_fp_ieee_underflow 0
		.amdhsa_exception_fp_ieee_inexact 0
		.amdhsa_exception_int_div_zero 0
	.end_amdhsa_kernel
	.text
.Lfunc_end0:
	.size	fft_rtc_back_len432_factors_3_16_3_3_wgs_54_tpt_27_halfLds_dp_ip_CI_sbrr_dirReg, .Lfunc_end0-fft_rtc_back_len432_factors_3_16_3_3_wgs_54_tpt_27_halfLds_dp_ip_CI_sbrr_dirReg
                                        ; -- End function
	.section	.AMDGPU.csdata,"",@progbits
; Kernel info:
; codeLenInByte = 11000
; NumSgprs: 25
; NumVgprs: 195
; ScratchSize: 0
; MemoryBound: 1
; FloatMode: 240
; IeeeMode: 1
; LDSByteSize: 0 bytes/workgroup (compile time only)
; SGPRBlocks: 3
; VGPRBlocks: 24
; NumSGPRsForWavesPerEU: 25
; NumVGPRsForWavesPerEU: 195
; Occupancy: 4
; WaveLimiterHint : 1
; COMPUTE_PGM_RSRC2:SCRATCH_EN: 0
; COMPUTE_PGM_RSRC2:USER_SGPR: 6
; COMPUTE_PGM_RSRC2:TRAP_HANDLER: 0
; COMPUTE_PGM_RSRC2:TGID_X_EN: 1
; COMPUTE_PGM_RSRC2:TGID_Y_EN: 0
; COMPUTE_PGM_RSRC2:TGID_Z_EN: 0
; COMPUTE_PGM_RSRC2:TIDIG_COMP_CNT: 0
	.text
	.p2alignl 6, 3214868480
	.fill 48, 4, 3214868480
	.type	__hip_cuid_5877f5ba393323b0,@object ; @__hip_cuid_5877f5ba393323b0
	.section	.bss,"aw",@nobits
	.globl	__hip_cuid_5877f5ba393323b0
__hip_cuid_5877f5ba393323b0:
	.byte	0                               ; 0x0
	.size	__hip_cuid_5877f5ba393323b0, 1

	.ident	"AMD clang version 19.0.0git (https://github.com/RadeonOpenCompute/llvm-project roc-6.4.0 25133 c7fe45cf4b819c5991fe208aaa96edf142730f1d)"
	.section	".note.GNU-stack","",@progbits
	.addrsig
	.addrsig_sym __hip_cuid_5877f5ba393323b0
	.amdgpu_metadata
---
amdhsa.kernels:
  - .args:
      - .actual_access:  read_only
        .address_space:  global
        .offset:         0
        .size:           8
        .value_kind:     global_buffer
      - .offset:         8
        .size:           8
        .value_kind:     by_value
      - .actual_access:  read_only
        .address_space:  global
        .offset:         16
        .size:           8
        .value_kind:     global_buffer
      - .actual_access:  read_only
        .address_space:  global
        .offset:         24
        .size:           8
        .value_kind:     global_buffer
      - .offset:         32
        .size:           8
        .value_kind:     by_value
      - .actual_access:  read_only
        .address_space:  global
        .offset:         40
        .size:           8
        .value_kind:     global_buffer
      - .actual_access:  read_only
        .address_space:  global
        .offset:         48
        .size:           8
        .value_kind:     global_buffer
      - .offset:         56
        .size:           4
        .value_kind:     by_value
      - .actual_access:  read_only
        .address_space:  global
        .offset:         64
        .size:           8
        .value_kind:     global_buffer
      - .actual_access:  read_only
        .address_space:  global
        .offset:         72
        .size:           8
        .value_kind:     global_buffer
      - .address_space:  global
        .offset:         80
        .size:           8
        .value_kind:     global_buffer
    .group_segment_fixed_size: 0
    .kernarg_segment_align: 8
    .kernarg_segment_size: 88
    .language:       OpenCL C
    .language_version:
      - 2
      - 0
    .max_flat_workgroup_size: 54
    .name:           fft_rtc_back_len432_factors_3_16_3_3_wgs_54_tpt_27_halfLds_dp_ip_CI_sbrr_dirReg
    .private_segment_fixed_size: 0
    .sgpr_count:     25
    .sgpr_spill_count: 0
    .symbol:         fft_rtc_back_len432_factors_3_16_3_3_wgs_54_tpt_27_halfLds_dp_ip_CI_sbrr_dirReg.kd
    .uniform_work_group_size: 1
    .uses_dynamic_stack: false
    .vgpr_count:     195
    .vgpr_spill_count: 0
    .wavefront_size: 32
    .workgroup_processor_mode: 1
amdhsa.target:   amdgcn-amd-amdhsa--gfx1030
amdhsa.version:
  - 1
  - 2
...

	.end_amdgpu_metadata
